;; amdgpu-corpus repo=ROCm/rocFFT kind=compiled arch=gfx1201 opt=O3
	.text
	.amdgcn_target "amdgcn-amd-amdhsa--gfx1201"
	.amdhsa_code_object_version 6
	.protected	fft_rtc_back_len192_factors_2_2_3_4_4_wgs_256_tpt_16_dim2_sp_ip_CI_sbcc_twdbase8_3step_dirReg ; -- Begin function fft_rtc_back_len192_factors_2_2_3_4_4_wgs_256_tpt_16_dim2_sp_ip_CI_sbcc_twdbase8_3step_dirReg
	.globl	fft_rtc_back_len192_factors_2_2_3_4_4_wgs_256_tpt_16_dim2_sp_ip_CI_sbcc_twdbase8_3step_dirReg
	.p2align	8
	.type	fft_rtc_back_len192_factors_2_2_3_4_4_wgs_256_tpt_16_dim2_sp_ip_CI_sbcc_twdbase8_3step_dirReg,@function
fft_rtc_back_len192_factors_2_2_3_4_4_wgs_256_tpt_16_dim2_sp_ip_CI_sbcc_twdbase8_3step_dirReg: ; @fft_rtc_back_len192_factors_2_2_3_4_4_wgs_256_tpt_16_dim2_sp_ip_CI_sbcc_twdbase8_3step_dirReg
; %bb.0:
	s_load_b128 s[4:7], s[0:1], 0x10
	s_mov_b32 s14, ttmp9
	s_mov_b32 s15, 0
	s_mov_b64 s[18:19], 0
	s_wait_kmcnt 0x0
	s_load_b64 s[12:13], s[4:5], 0x8
	s_load_b64 s[2:3], s[6:7], 0x0
	s_wait_kmcnt 0x0
	s_add_nc_u64 s[4:5], s[12:13], -1
	s_delay_alu instid0(SALU_CYCLE_1) | instskip(NEXT) | instid1(SALU_CYCLE_1)
	s_lshr_b64 s[4:5], s[4:5], 4
	s_add_nc_u64 s[16:17], s[4:5], 1
	s_delay_alu instid0(SALU_CYCLE_1) | instskip(NEXT) | instid1(VALU_DEP_1)
	v_cmp_lt_u64_e64 s4, s[14:15], s[16:17]
	s_and_b32 vcc_lo, exec_lo, s4
	s_cbranch_vccnz .LBB0_2
; %bb.1:
	v_cvt_f32_u32_e32 v1, s16
	s_sub_co_i32 s5, 0, s16
	s_mov_b32 s19, s15
	s_delay_alu instid0(VALU_DEP_1) | instskip(NEXT) | instid1(TRANS32_DEP_1)
	v_rcp_iflag_f32_e32 v1, v1
	v_mul_f32_e32 v1, 0x4f7ffffe, v1
	s_delay_alu instid0(VALU_DEP_1) | instskip(NEXT) | instid1(VALU_DEP_1)
	v_cvt_u32_f32_e32 v1, v1
	v_readfirstlane_b32 s4, v1
	s_delay_alu instid0(VALU_DEP_1) | instskip(NEXT) | instid1(SALU_CYCLE_1)
	s_mul_i32 s5, s5, s4
	s_mul_hi_u32 s5, s4, s5
	s_delay_alu instid0(SALU_CYCLE_1) | instskip(NEXT) | instid1(SALU_CYCLE_1)
	s_add_co_i32 s4, s4, s5
	s_mul_hi_u32 s4, s14, s4
	s_delay_alu instid0(SALU_CYCLE_1) | instskip(SKIP_2) | instid1(SALU_CYCLE_1)
	s_mul_i32 s5, s4, s16
	s_add_co_i32 s8, s4, 1
	s_sub_co_i32 s5, s14, s5
	s_sub_co_i32 s9, s5, s16
	s_cmp_ge_u32 s5, s16
	s_cselect_b32 s4, s8, s4
	s_cselect_b32 s5, s9, s5
	s_add_co_i32 s8, s4, 1
	s_cmp_ge_u32 s5, s16
	s_cselect_b32 s18, s8, s4
.LBB0_2:
	s_load_b128 s[4:7], s[6:7], 0x8
	s_clause 0x1
	s_load_b64 s[10:11], s[0:1], 0x0
	s_load_b64 s[8:9], s[0:1], 0x50
	s_mul_u64 s[16:17], s[18:19], s[16:17]
	v_lshrrev_b32_e32 v30, 4, v0
	s_wait_alu 0xfffe
	s_sub_nc_u64 s[14:15], s[14:15], s[16:17]
	s_wait_alu 0xfffe
	s_lshl_b64 s[16:17], s[14:15], 4
	s_wait_alu 0xfffe
	v_dual_mov_b32 v2, s17 :: v_dual_and_b32 v27, 15, v0
	s_add_nc_u64 s[14:15], s[16:17], 16
	s_wait_alu 0xfffe
	v_cmp_gt_u64_e64 s20, s[14:15], s[12:13]
	v_cmp_le_u64_e64 s14, s[14:15], s[12:13]
	v_or_b32_e32 v1, s16, v27
	s_delay_alu instid0(VALU_DEP_3)
	s_and_b32 vcc_lo, exec_lo, s20
	s_wait_kmcnt 0x0
	s_mul_u64 s[16:17], s[16:17], s[4:5]
	s_mul_u64 s[6:7], s[6:7], s[18:19]
	s_wait_alu 0xfffe
	s_add_nc_u64 s[6:7], s[6:7], s[16:17]
	s_cbranch_vccz .LBB0_8
; %bb.3:
	s_mov_b32 s15, exec_lo
                                        ; implicit-def: $vgpr28
                                        ; implicit-def: $vgpr29
                                        ; implicit-def: $vgpr31
                                        ; implicit-def: $vgpr32
                                        ; implicit-def: $vgpr33
	v_cmpx_le_u64_e64 s[12:13], v[1:2]
	s_wait_alu 0xfffe
	s_xor_b32 s15, exec_lo, s15
; %bb.4:
	v_or_b32_e32 v28, 16, v30
	v_or_b32_e32 v29, 32, v30
	;; [unrolled: 1-line block ×5, first 2 shown]
; %bb.5:
	s_wait_alu 0xfffe
	s_or_saveexec_b32 s15, s15
                                        ; implicit-def: $vgpr3
                                        ; implicit-def: $vgpr19
                                        ; implicit-def: $vgpr15
                                        ; implicit-def: $vgpr11
                                        ; implicit-def: $vgpr17
                                        ; implicit-def: $vgpr13
                                        ; implicit-def: $vgpr21
                                        ; implicit-def: $vgpr25
                                        ; implicit-def: $vgpr23
                                        ; implicit-def: $vgpr5
                                        ; implicit-def: $vgpr9
                                        ; implicit-def: $vgpr7
	s_wait_alu 0xfffe
	s_xor_b32 exec_lo, exec_lo, s15
	s_cbranch_execz .LBB0_7
; %bb.6:
	v_mad_co_u64_u32 v[3:4], null, s4, v27, 0
	v_mad_co_u64_u32 v[5:6], null, s2, v30, 0
	v_or_b32_e32 v15, 0x60, v30
	v_or_b32_e32 v28, 16, v30
	;; [unrolled: 1-line block ×3, first 2 shown]
	s_lshl_b64 s[16:17], s[6:7], 3
	v_or_b32_e32 v29, 32, v30
	s_wait_alu 0xfffe
	s_add_nc_u64 s[16:17], s[8:9], s[16:17]
	v_mad_co_u64_u32 v[7:8], null, s5, v27, v[4:5]
	v_mad_co_u64_u32 v[8:9], null, s2, v15, 0
	;; [unrolled: 1-line block ×3, first 2 shown]
	v_or_b32_e32 v22, 0x80, v30
	v_or_b32_e32 v31, 48, v30
	v_mad_co_u64_u32 v[12:13], null, s3, v30, v[6:7]
	v_dual_mov_b32 v4, v7 :: v_dual_mov_b32 v7, v9
	v_mov_b32_e32 v9, v11
	v_mad_co_u64_u32 v[13:14], null, s2, v17, 0
	s_delay_alu instid0(VALU_DEP_3) | instskip(SKIP_3) | instid1(VALU_DEP_3)
	v_lshlrev_b64_e32 v[3:4], 3, v[3:4]
	v_mov_b32_e32 v6, v12
	v_mad_co_u64_u32 v[11:12], null, s3, v15, v[7:8]
	v_mad_co_u64_u32 v[15:16], null, s3, v28, v[9:10]
	v_lshlrev_b64_e32 v[5:6], 3, v[5:6]
	s_wait_alu 0xfffe
	v_add_co_u32 v43, vcc_lo, s16, v3
	v_add_co_ci_u32_e32 v44, vcc_lo, s17, v4, vcc_lo
	v_mov_b32_e32 v9, v11
	s_delay_alu instid0(VALU_DEP_3) | instskip(SKIP_1) | instid1(VALU_DEP_3)
	v_add_co_u32 v3, vcc_lo, v43, v5
	s_wait_alu 0xfffd
	v_add_co_ci_u32_e32 v4, vcc_lo, v44, v6, vcc_lo
	s_delay_alu instid0(VALU_DEP_3) | instskip(SKIP_4) | instid1(VALU_DEP_4)
	v_lshlrev_b64_e32 v[6:7], 3, v[8:9]
	v_mov_b32_e32 v5, v14
	v_mov_b32_e32 v11, v15
	v_mad_co_u64_u32 v[20:21], null, s2, v31, 0
	v_or_b32_e32 v32, 64, v30
	v_mad_co_u64_u32 v[8:9], null, s3, v17, v[5:6]
	s_delay_alu instid0(VALU_DEP_4)
	v_lshlrev_b64_e32 v[9:10], 3, v[10:11]
	v_mad_co_u64_u32 v[11:12], null, s2, v29, 0
	v_add_co_u32 v5, vcc_lo, v43, v6
	s_wait_alu 0xfffd
	v_add_co_ci_u32_e32 v6, vcc_lo, v44, v7, vcc_lo
	v_mov_b32_e32 v14, v8
	v_add_co_u32 v15, vcc_lo, v43, v9
	v_mov_b32_e32 v7, v12
	s_wait_alu 0xfffd
	v_add_co_ci_u32_e32 v16, vcc_lo, v44, v10, vcc_lo
	v_lshlrev_b64_e32 v[8:9], 3, v[13:14]
	v_mad_co_u64_u32 v[13:14], null, s2, v22, 0
	v_or_b32_e32 v34, 0xa0, v30
	v_or_b32_e32 v33, 0x50, v30
	s_delay_alu instid0(VALU_DEP_4)
	v_mad_co_u64_u32 v[17:18], null, s3, v29, v[7:8]
	v_add_co_u32 v18, vcc_lo, v43, v8
	v_mov_b32_e32 v7, v14
	s_wait_alu 0xfffd
	v_add_co_ci_u32_e32 v19, vcc_lo, v44, v9, vcc_lo
	v_mad_co_u64_u32 v[25:26], null, s2, v33, 0
	s_delay_alu instid0(VALU_DEP_3)
	v_mad_co_u64_u32 v[22:23], null, s3, v22, v[7:8]
	s_clause 0x3
	global_load_b64 v[7:8], v[3:4], off
	global_load_b64 v[9:10], v[5:6], off
	;; [unrolled: 1-line block ×4, first 2 shown]
	v_mov_b32_e32 v15, v21
	v_or_b32_e32 v23, 0x90, v30
	v_mov_b32_e32 v12, v17
	v_mad_co_u64_u32 v[18:19], null, s2, v32, 0
	s_delay_alu instid0(VALU_DEP_4) | instskip(NEXT) | instid1(VALU_DEP_4)
	v_mad_co_u64_u32 v[15:16], null, s3, v31, v[15:16]
	v_mad_co_u64_u32 v[16:17], null, s2, v23, 0
	v_mov_b32_e32 v14, v22
	v_lshlrev_b64_e32 v[11:12], 3, v[11:12]
	s_delay_alu instid0(VALU_DEP_4) | instskip(NEXT) | instid1(VALU_DEP_3)
	v_mov_b32_e32 v21, v15
	v_lshlrev_b64_e32 v[13:14], 3, v[13:14]
	v_mov_b32_e32 v15, v17
	s_delay_alu instid0(VALU_DEP_4) | instskip(SKIP_2) | instid1(VALU_DEP_3)
	v_add_co_u32 v11, vcc_lo, v43, v11
	s_wait_alu 0xfffd
	v_add_co_ci_u32_e32 v12, vcc_lo, v44, v12, vcc_lo
	v_mad_co_u64_u32 v[22:23], null, s3, v23, v[15:16]
	v_mad_co_u64_u32 v[23:24], null, s2, v34, 0
	v_mov_b32_e32 v15, v19
	v_lshlrev_b64_e32 v[19:20], 3, v[20:21]
	v_add_co_u32 v13, vcc_lo, v43, v13
	v_mov_b32_e32 v17, v22
	s_delay_alu instid0(VALU_DEP_4)
	v_mad_co_u64_u32 v[21:22], null, s3, v32, v[15:16]
	v_mov_b32_e32 v15, v24
	v_or_b32_e32 v22, 0xb0, v30
	s_wait_alu 0xfffd
	v_add_co_ci_u32_e32 v14, vcc_lo, v44, v14, vcc_lo
	v_add_co_u32 v37, vcc_lo, v43, v19
	v_mad_co_u64_u32 v[34:35], null, s3, v34, v[15:16]
	v_mad_co_u64_u32 v[35:36], null, s2, v22, 0
	v_lshlrev_b64_e32 v[16:17], 3, v[16:17]
	v_mov_b32_e32 v15, v26
	s_wait_alu 0xfffd
	v_add_co_ci_u32_e32 v38, vcc_lo, v44, v20, vcc_lo
	v_dual_mov_b32 v19, v21 :: v_dual_mov_b32 v24, v34
	s_delay_alu instid0(VALU_DEP_3) | instskip(SKIP_2) | instid1(VALU_DEP_4)
	v_mad_co_u64_u32 v[20:21], null, s3, v33, v[15:16]
	v_mov_b32_e32 v15, v36
	v_add_co_u32 v16, vcc_lo, v43, v16
	v_lshlrev_b64_e32 v[18:19], 3, v[18:19]
	s_wait_alu 0xfffd
	v_add_co_ci_u32_e32 v17, vcc_lo, v44, v17, vcc_lo
	s_delay_alu instid0(VALU_DEP_3)
	v_mad_co_u64_u32 v[21:22], null, s3, v22, v[15:16]
	v_mov_b32_e32 v26, v20
	v_lshlrev_b64_e32 v[22:23], 3, v[23:24]
	v_add_co_u32 v39, vcc_lo, v43, v18
	s_wait_alu 0xfffd
	v_add_co_ci_u32_e32 v40, vcc_lo, v44, v19, vcc_lo
	v_mov_b32_e32 v36, v21
	v_lshlrev_b64_e32 v[18:19], 3, v[25:26]
	v_add_co_u32 v41, vcc_lo, v43, v22
	s_wait_alu 0xfffd
	v_add_co_ci_u32_e32 v42, vcc_lo, v44, v23, vcc_lo
	v_lshlrev_b64_e32 v[20:21], 3, v[35:36]
	s_delay_alu instid0(VALU_DEP_4) | instskip(SKIP_2) | instid1(VALU_DEP_3)
	v_add_co_u32 v34, vcc_lo, v43, v18
	s_wait_alu 0xfffd
	v_add_co_ci_u32_e32 v35, vcc_lo, v44, v19, vcc_lo
	v_add_co_u32 v43, vcc_lo, v43, v20
	s_wait_alu 0xfffd
	v_add_co_ci_u32_e32 v44, vcc_lo, v44, v21, vcc_lo
	s_clause 0x7
	global_load_b64 v[23:24], v[11:12], off
	global_load_b64 v[25:26], v[13:14], off
	;; [unrolled: 1-line block ×8, first 2 shown]
.LBB0_7:
	s_or_b32 exec_lo, exec_lo, s15
	s_cbranch_execz .LBB0_9
	s_branch .LBB0_10
.LBB0_8:
                                        ; implicit-def: $vgpr3
                                        ; implicit-def: $vgpr19
                                        ; implicit-def: $vgpr15
                                        ; implicit-def: $vgpr11
                                        ; implicit-def: $vgpr17
                                        ; implicit-def: $vgpr13
                                        ; implicit-def: $vgpr21
                                        ; implicit-def: $vgpr25
                                        ; implicit-def: $vgpr23
                                        ; implicit-def: $vgpr5
                                        ; implicit-def: $vgpr9
                                        ; implicit-def: $vgpr7
                                        ; implicit-def: $vgpr28
                                        ; implicit-def: $vgpr29
                                        ; implicit-def: $vgpr31
                                        ; implicit-def: $vgpr32
                                        ; implicit-def: $vgpr33
.LBB0_9:
	s_wait_loadcnt 0x8
	v_mad_co_u64_u32 v[3:4], null, s4, v27, 0
	v_mad_co_u64_u32 v[5:6], null, s2, v30, 0
	s_wait_loadcnt 0x0
	v_or_b32_e32 v15, 0x60, v30
	v_or_b32_e32 v28, 16, v30
	v_or_b32_e32 v17, 0x70, v30
	s_lshl_b64 s[16:17], s[6:7], 3
	v_or_b32_e32 v29, 32, v30
	s_wait_alu 0xfffe
	s_add_nc_u64 s[16:17], s[8:9], s[16:17]
	v_mad_co_u64_u32 v[7:8], null, s5, v27, v[4:5]
	v_mad_co_u64_u32 v[8:9], null, s2, v15, 0
	v_mad_co_u64_u32 v[10:11], null, s2, v28, 0
	v_or_b32_e32 v22, 0x80, v30
	v_or_b32_e32 v31, 48, v30
	v_mad_co_u64_u32 v[12:13], null, s3, v30, v[6:7]
	v_dual_mov_b32 v4, v7 :: v_dual_mov_b32 v7, v9
	v_mov_b32_e32 v9, v11
	v_mad_co_u64_u32 v[13:14], null, s2, v17, 0
	s_delay_alu instid0(VALU_DEP_3) | instskip(SKIP_3) | instid1(VALU_DEP_3)
	v_lshlrev_b64_e32 v[3:4], 3, v[3:4]
	v_mov_b32_e32 v6, v12
	v_mad_co_u64_u32 v[11:12], null, s3, v15, v[7:8]
	v_mad_co_u64_u32 v[15:16], null, s3, v28, v[9:10]
	v_lshlrev_b64_e32 v[5:6], 3, v[5:6]
	s_wait_alu 0xfffe
	v_add_co_u32 v43, vcc_lo, s16, v3
	s_wait_alu 0xfffd
	v_add_co_ci_u32_e32 v44, vcc_lo, s17, v4, vcc_lo
	v_mov_b32_e32 v9, v11
	s_delay_alu instid0(VALU_DEP_3) | instskip(SKIP_1) | instid1(VALU_DEP_3)
	v_add_co_u32 v3, vcc_lo, v43, v5
	s_wait_alu 0xfffd
	v_add_co_ci_u32_e32 v4, vcc_lo, v44, v6, vcc_lo
	s_delay_alu instid0(VALU_DEP_3) | instskip(SKIP_4) | instid1(VALU_DEP_4)
	v_lshlrev_b64_e32 v[6:7], 3, v[8:9]
	v_mov_b32_e32 v5, v14
	v_mov_b32_e32 v11, v15
	v_mad_co_u64_u32 v[20:21], null, s2, v31, 0
	v_or_b32_e32 v32, 64, v30
	v_mad_co_u64_u32 v[8:9], null, s3, v17, v[5:6]
	s_delay_alu instid0(VALU_DEP_4)
	v_lshlrev_b64_e32 v[9:10], 3, v[10:11]
	v_mad_co_u64_u32 v[11:12], null, s2, v29, 0
	v_add_co_u32 v5, vcc_lo, v43, v6
	s_wait_alu 0xfffd
	v_add_co_ci_u32_e32 v6, vcc_lo, v44, v7, vcc_lo
	v_mov_b32_e32 v14, v8
	v_add_co_u32 v15, vcc_lo, v43, v9
	v_mov_b32_e32 v7, v12
	s_wait_alu 0xfffd
	v_add_co_ci_u32_e32 v16, vcc_lo, v44, v10, vcc_lo
	v_lshlrev_b64_e32 v[8:9], 3, v[13:14]
	v_mad_co_u64_u32 v[13:14], null, s2, v22, 0
	v_or_b32_e32 v34, 0xa0, v30
	v_or_b32_e32 v33, 0x50, v30
	s_delay_alu instid0(VALU_DEP_4)
	v_mad_co_u64_u32 v[17:18], null, s3, v29, v[7:8]
	v_add_co_u32 v18, vcc_lo, v43, v8
	v_mov_b32_e32 v7, v14
	s_wait_alu 0xfffd
	v_add_co_ci_u32_e32 v19, vcc_lo, v44, v9, vcc_lo
	v_mad_co_u64_u32 v[25:26], null, s2, v33, 0
	s_delay_alu instid0(VALU_DEP_3)
	v_mad_co_u64_u32 v[22:23], null, s3, v22, v[7:8]
	s_clause 0x3
	global_load_b64 v[7:8], v[3:4], off
	global_load_b64 v[9:10], v[5:6], off
	;; [unrolled: 1-line block ×4, first 2 shown]
	v_mov_b32_e32 v15, v21
	v_or_b32_e32 v23, 0x90, v30
	v_mov_b32_e32 v12, v17
	v_mad_co_u64_u32 v[18:19], null, s2, v32, 0
	s_delay_alu instid0(VALU_DEP_4) | instskip(NEXT) | instid1(VALU_DEP_4)
	v_mad_co_u64_u32 v[15:16], null, s3, v31, v[15:16]
	v_mad_co_u64_u32 v[16:17], null, s2, v23, 0
	v_mov_b32_e32 v14, v22
	v_lshlrev_b64_e32 v[11:12], 3, v[11:12]
	s_delay_alu instid0(VALU_DEP_4) | instskip(NEXT) | instid1(VALU_DEP_3)
	v_mov_b32_e32 v21, v15
	v_lshlrev_b64_e32 v[13:14], 3, v[13:14]
	v_mov_b32_e32 v15, v17
	s_delay_alu instid0(VALU_DEP_4) | instskip(SKIP_2) | instid1(VALU_DEP_3)
	v_add_co_u32 v11, vcc_lo, v43, v11
	s_wait_alu 0xfffd
	v_add_co_ci_u32_e32 v12, vcc_lo, v44, v12, vcc_lo
	v_mad_co_u64_u32 v[22:23], null, s3, v23, v[15:16]
	v_mad_co_u64_u32 v[23:24], null, s2, v34, 0
	v_mov_b32_e32 v15, v19
	v_lshlrev_b64_e32 v[19:20], 3, v[20:21]
	v_add_co_u32 v13, vcc_lo, v43, v13
	v_mov_b32_e32 v17, v22
	s_delay_alu instid0(VALU_DEP_4)
	v_mad_co_u64_u32 v[21:22], null, s3, v32, v[15:16]
	v_mov_b32_e32 v15, v24
	v_or_b32_e32 v22, 0xb0, v30
	s_wait_alu 0xfffd
	v_add_co_ci_u32_e32 v14, vcc_lo, v44, v14, vcc_lo
	v_add_co_u32 v37, vcc_lo, v43, v19
	v_mad_co_u64_u32 v[34:35], null, s3, v34, v[15:16]
	v_mad_co_u64_u32 v[35:36], null, s2, v22, 0
	v_lshlrev_b64_e32 v[16:17], 3, v[16:17]
	v_mov_b32_e32 v15, v26
	s_wait_alu 0xfffd
	v_add_co_ci_u32_e32 v38, vcc_lo, v44, v20, vcc_lo
	v_dual_mov_b32 v19, v21 :: v_dual_mov_b32 v24, v34
	s_delay_alu instid0(VALU_DEP_3) | instskip(SKIP_2) | instid1(VALU_DEP_4)
	v_mad_co_u64_u32 v[20:21], null, s3, v33, v[15:16]
	v_mov_b32_e32 v15, v36
	v_add_co_u32 v16, vcc_lo, v43, v16
	v_lshlrev_b64_e32 v[18:19], 3, v[18:19]
	s_wait_alu 0xfffd
	v_add_co_ci_u32_e32 v17, vcc_lo, v44, v17, vcc_lo
	s_delay_alu instid0(VALU_DEP_3)
	v_mad_co_u64_u32 v[21:22], null, s3, v22, v[15:16]
	v_mov_b32_e32 v26, v20
	v_lshlrev_b64_e32 v[22:23], 3, v[23:24]
	v_add_co_u32 v39, vcc_lo, v43, v18
	s_wait_alu 0xfffd
	v_add_co_ci_u32_e32 v40, vcc_lo, v44, v19, vcc_lo
	v_mov_b32_e32 v36, v21
	v_lshlrev_b64_e32 v[18:19], 3, v[25:26]
	v_add_co_u32 v41, vcc_lo, v43, v22
	s_wait_alu 0xfffd
	v_add_co_ci_u32_e32 v42, vcc_lo, v44, v23, vcc_lo
	v_lshlrev_b64_e32 v[20:21], 3, v[35:36]
	s_delay_alu instid0(VALU_DEP_4) | instskip(SKIP_2) | instid1(VALU_DEP_3)
	v_add_co_u32 v34, vcc_lo, v43, v18
	s_wait_alu 0xfffd
	v_add_co_ci_u32_e32 v35, vcc_lo, v44, v19, vcc_lo
	v_add_co_u32 v43, vcc_lo, v43, v20
	s_wait_alu 0xfffd
	v_add_co_ci_u32_e32 v44, vcc_lo, v44, v21, vcc_lo
	s_clause 0x7
	global_load_b64 v[23:24], v[11:12], off
	global_load_b64 v[25:26], v[13:14], off
	;; [unrolled: 1-line block ×8, first 2 shown]
.LBB0_10:
	s_wait_loadcnt 0x8
	v_dual_sub_f32 v34, v5, v3 :: v_dual_sub_f32 v35, v6, v4
	v_dual_sub_f32 v9, v7, v9 :: v_dual_sub_f32 v10, v8, v10
	s_wait_loadcnt 0x2
	v_sub_f32_e32 v17, v13, v17
	s_delay_alu instid0(VALU_DEP_3)
	v_fma_f32 v4, v5, 2.0, -v34
	v_fma_f32 v5, v6, 2.0, -v35
	v_lshlrev_b32_e32 v6, 8, v30
	v_dual_sub_f32 v18, v14, v18 :: v_dual_lshlrev_b32 v3, 3, v27
	v_fma_f32 v7, v7, 2.0, -v9
	v_fma_f32 v8, v8, 2.0, -v10
	v_lshlrev_b32_e32 v36, 8, v28
	s_delay_alu instid0(VALU_DEP_4)
	v_add3_u32 v6, 0, v6, v3
	v_dual_sub_f32 v25, v23, v25 :: v_dual_sub_f32 v26, v24, v26
	v_dual_sub_f32 v19, v21, v19 :: v_dual_sub_f32 v20, v22, v20
	ds_store_2addr_b64 v6, v[7:8], v[9:10] offset1:16
	v_add3_u32 v7, 0, v36, v3
	v_lshlrev_b32_e32 v8, 8, v29
	v_lshlrev_b32_e32 v10, 8, v32
	;; [unrolled: 1-line block ×3, first 2 shown]
	s_wait_loadcnt 0x0
	v_dual_sub_f32 v15, v11, v15 :: v_dual_sub_f32 v16, v12, v16
	v_lshlrev_b32_e32 v36, 8, v33
	v_fma_f32 v23, v23, 2.0, -v25
	v_fma_f32 v24, v24, 2.0, -v26
	ds_store_2addr_b64 v7, v[4:5], v[34:35] offset1:16
	v_add3_u32 v4, 0, v8, v3
	v_add3_u32 v8, 0, v10, v3
	v_bfe_u32 v10, v0, 4, 1
	v_fma_f32 v21, v21, 2.0, -v19
	v_fma_f32 v22, v22, 2.0, -v20
	v_add3_u32 v5, 0, v9, v3
	v_fma_f32 v13, v13, 2.0, -v17
	v_fma_f32 v14, v14, 2.0, -v18
	;; [unrolled: 1-line block ×4, first 2 shown]
	v_add3_u32 v9, 0, v36, v3
	ds_store_2addr_b64 v4, v[23:24], v[25:26] offset1:16
	ds_store_2addr_b64 v5, v[21:22], v[19:20] offset1:16
	;; [unrolled: 1-line block ×4, first 2 shown]
	v_lshlrev_b32_e32 v11, 3, v10
	global_wb scope:SCOPE_SE
	s_wait_dscnt 0x0
	s_barrier_signal -1
	s_barrier_wait -1
	global_inv scope:SCOPE_SE
	global_load_b64 v[20:21], v11, s[10:11]
	v_lshlrev_b32_e32 v11, 7, v30
	v_lshlrev_b32_e32 v15, 7, v32
	;; [unrolled: 1-line block ×9, first 2 shown]
	v_sub_nc_u32_e32 v6, v6, v11
	v_and_or_b32 v17, v17, 28, v10
	v_and_or_b32 v18, 0xfc, v18, v10
	;; [unrolled: 1-line block ×6, first 2 shown]
	v_sub_nc_u32_e32 v41, v8, v15
	v_sub_nc_u32_e32 v34, v9, v16
	ds_load_2addr_stride64_b64 v[8:11], v6 offset1:24
	v_lshlrev_b32_e32 v13, 7, v29
	v_lshlrev_b32_e32 v14, 7, v31
	;; [unrolled: 1-line block ×6, first 2 shown]
	v_sub_nc_u32_e32 v5, v5, v14
	v_sub_nc_u32_e32 v7, v7, v12
	v_lshlrev_b32_e32 v45, 7, v22
	v_lshlrev_b32_e32 v46, 7, v23
	;; [unrolled: 1-line block ×3, first 2 shown]
	v_bfe_u32 v26, v0, 4, 2
	v_add3_u32 v42, 0, v42, v3
	v_cmp_gt_u64_e32 vcc_lo, s[12:13], v[1:2]
	v_add3_u32 v46, 0, v46, v3
	s_or_b32 s12, s14, vcc_lo
	s_wait_loadcnt_dscnt 0x0
	v_mul_f32_e32 v48, v21, v11
	v_sub_nc_u32_e32 v4, v4, v13
	ds_load_2addr_stride64_b64 v[12:15], v6 offset0:28 offset1:32
	ds_load_b64 v[22:23], v4
	ds_load_b64 v[24:25], v5
	ds_load_2addr_stride64_b64 v[16:19], v6 offset0:36 offset1:40
	ds_load_b64 v[32:33], v41
	ds_load_b64 v[34:35], v34
	;; [unrolled: 1-line block ×3, first 2 shown]
	ds_load_b64 v[38:39], v6 offset:22528
	v_mul_f32_e32 v49, v21, v10
	v_fmac_f32_e32 v48, v20, v10
	global_wb scope:SCOPE_SE
	s_wait_dscnt 0x0
	s_barrier_signal -1
	s_barrier_wait -1
	v_fma_f32 v11, v20, v11, -v49
	v_sub_f32_e32 v10, v8, v48
	global_inv scope:SCOPE_SE
	v_sub_f32_e32 v11, v9, v11
	v_fma_f32 v8, v8, 2.0, -v10
	v_mul_f32_e32 v50, v21, v13
	v_mul_f32_e32 v51, v21, v12
	;; [unrolled: 1-line block ×9, first 2 shown]
	v_dual_mul_f32 v21, v21, v38 :: v_dual_fmac_f32 v50, v20, v12
	v_fma_f32 v13, v20, v13, -v51
	v_fmac_f32_e32 v52, v20, v14
	v_fma_f32 v15, v20, v15, -v53
	v_fmac_f32_e32 v54, v20, v16
	;; [unrolled: 2-line block ×4, first 2 shown]
	v_fma_f32 v21, v20, v39, -v21
	v_dual_sub_f32 v12, v36, v50 :: v_dual_sub_f32 v13, v37, v13
	v_dual_sub_f32 v14, v22, v52 :: v_dual_sub_f32 v15, v23, v15
	;; [unrolled: 1-line block ×3, first 2 shown]
	v_dual_sub_f32 v19, v33, v19 :: v_dual_lshlrev_b32 v40, 4, v26
	v_sub_f32_e32 v18, v32, v56
	v_dual_sub_f32 v20, v34, v58 :: v_dual_sub_f32 v21, v35, v21
	v_fma_f32 v9, v9, 2.0, -v11
	v_add3_u32 v43, 0, v43, v3
	v_fma_f32 v36, v36, 2.0, -v12
	v_fma_f32 v37, v37, 2.0, -v13
	v_add3_u32 v44, 0, v44, v3
	v_fma_f32 v22, v22, 2.0, -v14
	;; [unrolled: 3-line block ×3, first 2 shown]
	v_fma_f32 v25, v25, 2.0, -v17
	v_fma_f32 v32, v32, 2.0, -v18
	;; [unrolled: 1-line block ×3, first 2 shown]
	v_add3_u32 v47, 0, v47, v3
	v_fma_f32 v34, v34, 2.0, -v20
	v_fma_f32 v35, v35, 2.0, -v21
	ds_store_2addr_b64 v42, v[8:9], v[10:11] offset1:32
	ds_store_2addr_b64 v43, v[36:37], v[12:13] offset1:32
	;; [unrolled: 1-line block ×6, first 2 shown]
	global_wb scope:SCOPE_SE
	s_wait_dscnt 0x0
	s_barrier_signal -1
	s_barrier_wait -1
	global_inv scope:SCOPE_SE
	global_load_b128 v[8:11], v40, s[10:11] offset:16
	v_lshrrev_b32_e32 v13, 2, v28
	v_lshrrev_b32_e32 v12, 6, v0
	;; [unrolled: 1-line block ×4, first 2 shown]
	ds_load_b64 v[24:25], v41
	v_mul_lo_u32 v13, v13, 12
	v_mul_u32_u24_e32 v12, 12, v12
	v_mul_lo_u32 v14, v14, 12
	v_mul_lo_u32 v15, v15, 12
	v_mul_lo_u16 v16, v30, 22
	v_and_b32_e32 v17, 0xff, v28
	v_or_b32_e32 v12, v12, v26
	v_or_b32_e32 v13, v13, v26
	s_delay_alu instid0(VALU_DEP_4)
	v_lshrrev_b16 v42, 8, v16
	v_or_b32_e32 v14, v14, v26
	v_or_b32_e32 v15, v15, v26
	v_lshlrev_b32_e32 v12, 7, v12
	v_lshlrev_b32_e32 v13, 7, v13
	v_mul_lo_u16 v16, 0xab, v17
	v_lshlrev_b32_e32 v19, 7, v14
	v_lshlrev_b32_e32 v20, 7, v15
	v_add3_u32 v26, 0, v12, v3
	v_add3_u32 v41, 0, v13, v3
	ds_load_2addr_stride64_b64 v[12:15], v6 offset0:32 offset1:36
	v_and_b32_e32 v18, 0xff, v29
	v_lshrrev_b16 v47, 11, v16
	v_add3_u32 v44, 0, v20, v3
	v_add3_u32 v43, 0, v19, v3
	s_wait_loadcnt_dscnt 0x0
	v_mul_f32_e32 v59, v11, v14
	v_mul_lo_u16 v17, 0xab, v18
	v_mul_lo_u16 v18, v42, 12
	v_mul_f32_e32 v53, v9, v24
	v_mul_f32_e32 v55, v11, v12
	s_delay_alu instid0(VALU_DEP_4) | instskip(NEXT) | instid1(VALU_DEP_4)
	v_lshrrev_b16 v48, 11, v17
	v_sub_nc_u16 v16, v30, v18
	v_mul_lo_u16 v17, v47, 12
	s_delay_alu instid0(VALU_DEP_3) | instskip(NEXT) | instid1(VALU_DEP_3)
	v_mul_lo_u16 v18, v48, 12
	v_and_b32_e32 v49, 0xff, v16
	s_delay_alu instid0(VALU_DEP_3) | instskip(NEXT) | instid1(VALU_DEP_3)
	v_sub_nc_u16 v21, v28, v17
	v_sub_nc_u16 v31, v29, v18
	ds_load_2addr_stride64_b64 v[16:19], v6 offset1:20
	v_and_b32_e32 v50, 0xff, v21
	ds_load_2addr_stride64_b64 v[20:23], v6 offset0:24 offset1:28
	v_mul_u32_u24_e32 v35, 3, v49
	v_and_b32_e32 v51, 0xff, v31
	ds_load_2addr_stride64_b64 v[31:34], v6 offset0:40 offset1:44
	v_mul_f32_e32 v52, v9, v25
	v_dual_mul_f32 v54, v11, v13 :: v_dual_lshlrev_b32 v45, 3, v35
	ds_load_b64 v[35:36], v7
	ds_load_b64 v[37:38], v4
	;; [unrolled: 1-line block ×3, first 2 shown]
	global_wb scope:SCOPE_SE
	s_wait_dscnt 0x0
	s_barrier_signal -1
	s_barrier_wait -1
	global_inv scope:SCOPE_SE
	v_mul_f32_e32 v57, v9, v18
	v_mul_f32_e32 v61, v9, v20
	v_mul_u32_u24_e32 v46, 3, v50
	v_mul_f32_e32 v65, v34, v11
	v_mul_f32_e32 v58, v11, v15
	;; [unrolled: 1-line block ×3, first 2 shown]
	s_delay_alu instid0(VALU_DEP_3) | instskip(NEXT) | instid1(VALU_DEP_3)
	v_fmac_f32_e32 v65, v33, v10
	v_fmac_f32_e32 v58, v10, v14
	v_fma_f32 v14, v10, v15, -v59
	v_dual_mul_f32 v62, v11, v32 :: v_dual_mul_f32 v11, v33, v11
	v_fma_f32 v15, v8, v21, -v61
	v_fmac_f32_e32 v52, v8, v24
	v_mul_f32_e32 v56, v9, v19
	v_fma_f32 v24, v8, v25, -v53
	v_fmac_f32_e32 v54, v10, v12
	v_fma_f32 v12, v10, v13, -v55
	v_mul_f32_e32 v60, v9, v21
	v_fmac_f32_e32 v56, v8, v18
	v_fma_f32 v13, v8, v19, -v57
	v_fma_f32 v18, v10, v32, -v63
	;; [unrolled: 1-line block ×3, first 2 shown]
	v_add_f32_e32 v11, v17, v24
	v_mul_f32_e32 v64, v9, v23
	v_mul_f32_e32 v9, v9, v22
	v_add_f32_e32 v21, v24, v12
	v_dual_fmac_f32 v60, v8, v20 :: v_dual_add_f32 v55, v38, v15
	s_delay_alu instid0(VALU_DEP_4) | instskip(NEXT) | instid1(VALU_DEP_4)
	v_fmac_f32_e32 v64, v8, v22
	v_fma_f32 v8, v8, v23, -v9
	v_sub_f32_e32 v53, v15, v18
	v_add_f32_e32 v9, v16, v52
	v_sub_f32_e32 v25, v13, v14
	s_delay_alu instid0(VALU_DEP_4)
	v_dual_add_f32 v32, v13, v14 :: v_dual_sub_f32 v61, v8, v19
	v_dual_add_f32 v59, v39, v64 :: v_dual_fmac_f32 v62, v10, v31
	v_sub_f32_e32 v33, v56, v58
	v_add_f32_e32 v31, v36, v13
	v_sub_f32_e32 v20, v24, v12
	v_add_f32_e32 v63, v40, v8
	v_add_f32_e32 v66, v8, v19
	v_dual_add_f32 v8, v9, v54 :: v_dual_add_f32 v9, v11, v12
	v_fma_f32 v11, -0.5, v21, v17
	v_add_f32_e32 v24, v56, v58
	v_dual_add_f32 v10, v52, v54 :: v_dual_add_f32 v17, v63, v19
	v_add_f32_e32 v23, v35, v56
	v_fmac_f32_e32 v36, -0.5, v32
	s_delay_alu instid0(VALU_DEP_4)
	v_fma_f32 v35, -0.5, v24, v35
	v_sub_f32_e32 v22, v52, v54
	v_add_f32_e32 v52, v60, v62
	v_dual_add_f32 v34, v37, v60 :: v_dual_sub_f32 v57, v60, v62
	v_fma_f32 v10, -0.5, v10, v16
	v_fmamk_f32 v21, v33, 0x3f5db3d7, v36
	s_delay_alu instid0(VALU_DEP_4)
	v_fma_f32 v37, -0.5, v52, v37
	v_add_f32_e32 v56, v15, v18
	v_dual_add_f32 v60, v64, v65 :: v_dual_add_f32 v15, v55, v18
	v_dual_add_f32 v13, v31, v14 :: v_dual_fmamk_f32 v18, v20, 0xbf5db3d7, v10
	v_fmac_f32_e32 v10, 0x3f5db3d7, v20
	v_fmamk_f32 v20, v25, 0xbf5db3d7, v35
	v_fmac_f32_e32 v35, 0x3f5db3d7, v25
	v_fmamk_f32 v19, v22, 0x3f5db3d7, v11
	;; [unrolled: 2-line block ×3, first 2 shown]
	v_dual_fmac_f32 v37, 0x3f5db3d7, v53 :: v_dual_fmac_f32 v38, -0.5, v56
	v_sub_f32_e32 v64, v64, v65
	v_fma_f32 v39, -0.5, v60, v39
	v_fmac_f32_e32 v40, -0.5, v66
	v_add_f32_e32 v12, v23, v58
	v_fmac_f32_e32 v36, 0xbf5db3d7, v33
	v_dual_add_f32 v16, v59, v65 :: v_dual_fmamk_f32 v23, v57, 0x3f5db3d7, v38
	s_delay_alu instid0(VALU_DEP_4)
	v_dual_add_f32 v14, v34, v62 :: v_dual_fmamk_f32 v25, v64, 0x3f5db3d7, v40
	v_fmac_f32_e32 v38, 0xbf5db3d7, v57
	v_fmamk_f32 v24, v61, 0xbf5db3d7, v39
	v_fmac_f32_e32 v39, 0x3f5db3d7, v61
	v_fmac_f32_e32 v40, 0xbf5db3d7, v64
	ds_store_2addr_stride64_b64 v26, v[8:9], v[18:19] offset1:1
	ds_store_b64 v26, v[10:11] offset:1024
	ds_store_2addr_stride64_b64 v41, v[12:13], v[20:21] offset1:1
	ds_store_b64 v41, v[35:36] offset:1024
	;; [unrolled: 2-line block ×4, first 2 shown]
	v_lshlrev_b32_e32 v16, 3, v46
	global_wb scope:SCOPE_SE
	s_wait_dscnt 0x0
	s_barrier_signal -1
	s_barrier_wait -1
	global_inv scope:SCOPE_SE
	s_clause 0x2
	global_load_b128 v[8:11], v45, s[10:11] offset:80
	global_load_b64 v[24:25], v45, s[10:11] offset:96
	global_load_b128 v[12:15], v16, s[10:11] offset:80
	v_mul_u32_u24_e32 v17, 3, v51
	v_and_b32_e32 v21, 0xffff, v47
	s_delay_alu instid0(VALU_DEP_2)
	v_lshlrev_b32_e32 v20, 3, v17
	s_clause 0x2
	global_load_b64 v[43:44], v16, s[10:11] offset:96
	global_load_b128 v[16:19], v20, s[10:11] offset:80
	global_load_b64 v[45:46], v20, s[10:11] offset:96
	ds_load_2addr_stride64_b64 v[31:34], v6 offset0:36 offset1:40
	v_mul_u32_u24_e32 v21, 48, v21
	ds_load_2addr_stride64_b64 v[35:38], v6 offset1:16
	v_or_b32_e32 v26, v21, v50
	s_wait_loadcnt_dscnt 0x401
	v_mul_f32_e32 v57, v25, v32
	v_and_b32_e32 v22, 0xffff, v48
	ds_load_b64 v[47:48], v5
	v_mul_f32_e32 v25, v25, v31
	v_fmac_f32_e32 v57, v24, v31
	v_mul_u32_u24_e32 v22, 48, v22
	s_delay_alu instid0(VALU_DEP_1) | instskip(SKIP_3) | instid1(VALU_DEP_2)
	v_or_b32_e32 v39, v22, v51
	s_wait_dscnt 0x0
	v_dual_mul_f32 v55, v9, v48 :: v_dual_and_b32 v20, 0xffff, v42
	v_mul_f32_e32 v9, v9, v47
	v_fmac_f32_e32 v55, v8, v47
	s_delay_alu instid0(VALU_DEP_3) | instskip(NEXT) | instid1(VALU_DEP_3)
	v_mul_u32_u24_e32 v20, 48, v20
	v_fma_f32 v8, v8, v48, -v9
	s_wait_loadcnt 0x2
	v_mul_f32_e32 v60, v34, v44
	s_delay_alu instid0(VALU_DEP_3)
	v_or_b32_e32 v2, v20, v49
	ds_load_2addr_stride64_b64 v[20:23], v6 offset0:20 offset1:24
	v_lshlrev_b32_e32 v49, 7, v39
	ds_load_2addr_stride64_b64 v[39:42], v6 offset0:28 offset1:32
	v_add3_u32 v54, 0, v49, v3
	s_wait_loadcnt_dscnt 0x101
	v_dual_mul_f32 v61, v21, v17 :: v_dual_lshlrev_b32 v26, 7, v26
	s_wait_dscnt 0x0
	v_dual_mul_f32 v59, v15, v40 :: v_dual_lshlrev_b32 v2, 7, v2
	s_delay_alu instid0(VALU_DEP_2) | instskip(NEXT) | instid1(VALU_DEP_3)
	v_dual_mul_f32 v56, v11, v23 :: v_dual_fmac_f32 v61, v20, v16
	v_add3_u32 v26, 0, v26, v3
	s_delay_alu instid0(VALU_DEP_3) | instskip(NEXT) | instid1(VALU_DEP_4)
	v_fmac_f32_e32 v59, v14, v39
	v_add3_u32 v53, 0, v2, v3
	ds_load_b64 v[2:3], v4
	ds_load_b64 v[49:50], v7
	ds_load_b64 v[51:52], v6 offset:22528
	v_mul_f32_e32 v11, v11, v22
	v_mul_f32_e32 v15, v15, v39
	v_dual_mul_f32 v17, v20, v17 :: v_dual_mul_f32 v62, v42, v19
	v_mul_f32_e32 v19, v41, v19
	s_delay_alu instid0(VALU_DEP_4)
	v_fma_f32 v9, v10, v23, -v11
	global_wb scope:SCOPE_SE
	s_wait_loadcnt_dscnt 0x0
	s_barrier_signal -1
	v_fmac_f32_e32 v62, v41, v18
	s_barrier_wait -1
	global_inv scope:SCOPE_SE
	v_mul_f32_e32 v63, v52, v46
	v_mul_f32_e32 v58, v13, v38
	v_dual_mul_f32 v13, v13, v37 :: v_dual_mul_f32 v46, v51, v46
	s_delay_alu instid0(VALU_DEP_3) | instskip(NEXT) | instid1(VALU_DEP_3)
	v_fmac_f32_e32 v63, v51, v45
	v_fmac_f32_e32 v58, v12, v37
	s_delay_alu instid0(VALU_DEP_3)
	v_fma_f32 v11, v12, v38, -v13
	v_fma_f32 v12, v14, v40, -v15
	;; [unrolled: 1-line block ×4, first 2 shown]
	v_sub_f32_e32 v18, v36, v9
	v_sub_f32_e32 v9, v55, v57
	;; [unrolled: 1-line block ×3, first 2 shown]
	v_fma_f32 v16, v52, v45, -v46
	v_dual_mul_f32 v44, v33, v44 :: v_dual_sub_f32 v23, v3, v15
	s_delay_alu instid0(VALU_DEP_4)
	v_fma_f32 v21, v55, 2.0, -v9
	v_sub_f32_e32 v9, v18, v9
	v_fmac_f32_e32 v56, v10, v22
	v_sub_f32_e32 v16, v14, v16
	v_fma_f32 v13, v34, v43, -v44
	v_fma_f32 v37, v3, 2.0, -v23
	v_fma_f32 v10, v24, v32, -v25
	v_sub_f32_e32 v17, v35, v56
	v_fma_f32 v39, v14, 2.0, -v16
	v_sub_f32_e32 v20, v50, v12
	v_dual_fmac_f32 v60, v33, v43 :: v_dual_sub_f32 v13, v11, v13
	v_sub_f32_e32 v15, v61, v63
	v_fma_f32 v24, v35, 2.0, -v17
	v_fma_f32 v25, v36, 2.0, -v18
	s_delay_alu instid0(VALU_DEP_4) | instskip(SKIP_3) | instid1(VALU_DEP_4)
	v_sub_f32_e32 v12, v58, v60
	v_fma_f32 v35, v11, 2.0, -v13
	v_dual_sub_f32 v3, v23, v15 :: v_dual_sub_f32 v22, v2, v62
	v_fma_f32 v32, v49, 2.0, -v19
	v_sub_f32_e32 v11, v20, v12
	v_fma_f32 v34, v58, 2.0, -v12
	v_dual_sub_f32 v12, v24, v21 :: v_dual_sub_f32 v21, v37, v39
	v_fma_f32 v33, v50, 2.0, -v20
	v_sub_f32_e32 v10, v8, v10
	v_fma_f32 v36, v2, 2.0, -v22
	v_fma_f32 v38, v61, 2.0, -v15
	v_add_f32_e32 v2, v22, v16
	v_sub_f32_e32 v16, v32, v34
	v_fma_f32 v31, v8, 2.0, -v10
	v_add_f32_e32 v8, v17, v10
	v_add_f32_e32 v10, v19, v13
	v_fma_f32 v24, v24, 2.0, -v12
	v_fma_f32 v22, v22, 2.0, -v2
	v_sub_f32_e32 v13, v25, v31
	v_fma_f32 v14, v17, 2.0, -v8
	v_sub_f32_e32 v17, v33, v35
	v_fma_f32 v15, v18, 2.0, -v9
	v_fma_f32 v18, v19, 2.0, -v10
	;; [unrolled: 1-line block ×3, first 2 shown]
	v_sub_f32_e32 v20, v36, v38
	v_fma_f32 v25, v25, 2.0, -v13
	v_fma_f32 v31, v32, 2.0, -v16
	;; [unrolled: 1-line block ×6, first 2 shown]
	ds_store_2addr_stride64_b64 v53, v[12:13], v[8:9] offset0:6 offset1:9
	ds_store_2addr_stride64_b64 v53, v[24:25], v[14:15] offset1:3
	ds_store_2addr_stride64_b64 v26, v[31:32], v[18:19] offset1:3
	ds_store_2addr_stride64_b64 v26, v[16:17], v[10:11] offset0:6 offset1:9
	ds_store_2addr_stride64_b64 v54, v[33:34], v[22:23] offset1:3
	ds_store_2addr_stride64_b64 v54, v[20:21], v[2:3] offset0:6 offset1:9
	global_wb scope:SCOPE_SE
	s_wait_dscnt 0x0
	s_barrier_signal -1
	s_barrier_wait -1
	global_inv scope:SCOPE_SE
	s_wait_alu 0xfffe
	s_and_saveexec_b32 s13, s12
	s_cbranch_execz .LBB0_12
; %bb.11:
	v_or_b32_e32 v2, -16, v30
	v_cmp_gt_u32_e32 vcc_lo, 0x100, v0
	s_load_b64 s[0:1], s[0:1], 0x8
	s_delay_alu instid0(VALU_DEP_2) | instskip(NEXT) | instid1(VALU_DEP_1)
	v_dual_mov_b32 v3, 0 :: v_dual_cndmask_b32 v16, v2, v29
	v_mul_i32_i24_e32 v2, 3, v16
	v_mul_lo_u32 v77, v1, v16
	s_delay_alu instid0(VALU_DEP_2) | instskip(SKIP_1) | instid1(VALU_DEP_2)
	v_lshlrev_b64_e32 v[8:9], 3, v[2:3]
	v_or_b32_e32 v2, 0xffffffe0, v30
	v_add_co_u32 v12, vcc_lo, s10, v8
	s_wait_alu 0xfffd
	s_delay_alu instid0(VALU_DEP_3)
	v_add_co_ci_u32_e32 v13, vcc_lo, s11, v9, vcc_lo
	v_cmp_gt_u32_e32 vcc_lo, 0x200, v0
	s_clause 0x1
	global_load_b128 v[8:11], v[12:13], off offset:368
	global_load_b64 v[24:25], v[12:13], off offset:384
	v_add_nc_u32_e32 v20, 48, v16
	s_wait_alu 0xfffd
	v_cndmask_b32_e32 v17, v2, v28, vcc_lo
	s_delay_alu instid0(VALU_DEP_2) | instskip(NEXT) | instid1(VALU_DEP_2)
	v_mul_lo_u32 v78, v1, v20
	v_mul_i32_i24_e32 v2, 3, v17
	s_delay_alu instid0(VALU_DEP_1) | instskip(SKIP_1) | instid1(VALU_DEP_4)
	v_lshlrev_b64_e32 v[12:13], 3, v[2:3]
	v_add_nc_u32_e32 v2, 0x90, v16
	v_and_b32_e32 v21, 0xff, v78
	v_lshrrev_b32_e32 v22, 5, v78
	s_delay_alu instid0(VALU_DEP_3)
	v_mul_lo_u32 v26, v1, v2
	v_add_co_u32 v31, vcc_lo, s10, v12
	s_wait_alu 0xfffd
	v_add_co_ci_u32_e32 v32, vcc_lo, s11, v13, vcc_lo
	v_add_nc_u32_e32 v2, 0x60, v16
	v_cmp_gt_u32_e32 vcc_lo, 0x300, v0
	v_and_b32_e32 v18, 0xff, v26
	v_lshrrev_b32_e32 v19, 5, v26
	global_load_b128 v[12:15], v[31:32], off offset:368
	v_mul_lo_u32 v2, v1, v2
	v_mul_lo_u32 v83, v1, v17
	v_lshlrev_b32_e32 v16, 3, v18
	v_and_b32_e32 v18, 0x7f8, v19
	s_wait_kmcnt 0x0
	s_clause 0x1
	global_load_b64 v[33:34], v16, s[0:1]
	global_load_b64 v[35:36], v18, s[0:1] offset:2048
	v_and_b32_e32 v19, 0xff, v2
	v_lshrrev_b32_e32 v20, 5, v2
	v_add_nc_u32_e32 v16, 0x90, v17
	v_add_nc_u32_e32 v18, 0x60, v17
	;; [unrolled: 1-line block ×3, first 2 shown]
	v_lshlrev_b32_e32 v19, 3, v19
	v_and_b32_e32 v20, 0x7f8, v20
	v_mul_lo_u32 v79, v1, v16
	s_clause 0x1
	global_load_b64 v[37:38], v19, s[0:1]
	global_load_b64 v[39:40], v20, s[0:1] offset:2048
	v_lshlrev_b32_e32 v19, 3, v21
	v_and_b32_e32 v16, 0xff, v77
	v_and_b32_e32 v20, 0x7f8, v22
	v_lshrrev_b32_e32 v21, 5, v77
	s_clause 0x1
	global_load_b64 v[41:42], v19, s[0:1]
	global_load_b64 v[43:44], v20, s[0:1] offset:2048
	v_lshlrev_b32_e32 v16, 3, v16
	v_and_b32_e32 v19, 0xff, v79
	v_lshrrev_b32_e32 v17, 5, v83
	v_mul_lo_u32 v80, v1, v18
	v_and_b32_e32 v18, 0x7f8, v21
	v_lshrrev_b32_e32 v20, 5, v79
	s_clause 0x1
	global_load_b64 v[45:46], v16, s[0:1]
	global_load_b64 v[47:48], v18, s[0:1] offset:2048
	v_lshlrev_b32_e32 v18, 3, v19
	v_and_b32_e32 v17, 0x7f8, v17
	v_mul_lo_u32 v81, v1, v23
	v_and_b32_e32 v16, 0xff, v80
	v_lshrrev_b32_e32 v2, 13, v2
	s_delay_alu instid0(VALU_DEP_3)
	v_and_b32_e32 v21, 0xff, v81
	v_lshrrev_b32_e32 v22, 5, v81
	s_wait_loadcnt 0x6
	v_mul_f32_e32 v94, v33, v36
	v_and_b32_e32 v19, 0x7f8, v20
	v_lshrrev_b32_e32 v20, 5, v80
	s_delay_alu instid0(VALU_DEP_3)
	v_fmac_f32_e32 v94, v34, v35
	s_clause 0x1
	global_load_b64 v[49:50], v18, s[0:1]
	global_load_b64 v[51:52], v19, s[0:1] offset:2048
	v_and_b32_e32 v2, 0x7f8, v2
	v_and_b32_e32 v18, 0x7f8, v20
	v_lshlrev_b32_e32 v19, 3, v21
	v_and_b32_e32 v20, 0x7f8, v22
	s_wait_loadcnt 0x4
	v_mul_f32_e32 v96, v41, v44
	s_delay_alu instid0(VALU_DEP_1) | instskip(SKIP_3) | instid1(VALU_DEP_1)
	v_fmac_f32_e32 v96, v42, v43
	s_wait_loadcnt 0x2
	v_mul_f32_e32 v98, v45, v48
	s_wait_loadcnt 0x0
	v_dual_fmac_f32 v98, v46, v47 :: v_dual_mul_f32 v99, v49, v52
	s_delay_alu instid0(VALU_DEP_1)
	v_dual_fmac_f32 v99, v50, v51 :: v_dual_lshlrev_b32 v16, 3, v16
	s_clause 0x3
	global_load_b64 v[53:54], v16, s[0:1]
	global_load_b64 v[55:56], v18, s[0:1] offset:2048
	global_load_b64 v[57:58], v19, s[0:1]
	global_load_b64 v[59:60], v20, s[0:1] offset:2048
	v_or_b32_e32 v16, 0xffffffd0, v30
	s_wait_alu 0xfffd
	s_delay_alu instid0(VALU_DEP_1) | instskip(NEXT) | instid1(VALU_DEP_1)
	v_cndmask_b32_e32 v82, v16, v30, vcc_lo
	v_add_nc_u32_e32 v16, 0x90, v82
	s_delay_alu instid0(VALU_DEP_1) | instskip(SKIP_1) | instid1(VALU_DEP_1)
	v_mul_lo_u32 v84, v1, v16
	v_and_b32_e32 v16, 0xff, v83
	v_lshlrev_b32_e32 v16, 3, v16
	s_clause 0x1
	global_load_b64 v[61:62], v16, s[0:1]
	global_load_b64 v[63:64], v17, s[0:1] offset:2048
	v_and_b32_e32 v18, 0xff, v84
	v_lshrrev_b32_e32 v16, 5, v84
	s_delay_alu instid0(VALU_DEP_2) | instskip(NEXT) | instid1(VALU_DEP_2)
	v_lshlrev_b32_e32 v17, 3, v18
	v_and_b32_e32 v16, 0x7f8, v16
	s_clause 0x1
	global_load_b64 v[65:66], v17, s[0:1]
	global_load_b64 v[67:68], v16, s[0:1] offset:2048
	v_add_nc_u32_e32 v16, 0x60, v82
	s_delay_alu instid0(VALU_DEP_1) | instskip(NEXT) | instid1(VALU_DEP_1)
	v_mul_lo_u32 v85, v1, v16
	v_and_b32_e32 v16, 0xff, v85
	v_lshrrev_b32_e32 v17, 5, v85
	s_delay_alu instid0(VALU_DEP_2) | instskip(NEXT) | instid1(VALU_DEP_2)
	v_lshlrev_b32_e32 v16, 3, v16
	v_and_b32_e32 v17, 0x7f8, v17
	s_clause 0x1
	global_load_b64 v[69:70], v16, s[0:1]
	global_load_b64 v[71:72], v17, s[0:1] offset:2048
	ds_load_2addr_stride64_b64 v[16:19], v6 offset0:28 offset1:32
	ds_load_2addr_stride64_b64 v[20:23], v6 offset0:20 offset1:24
	ds_load_b64 v[73:74], v6 offset:22528
	ds_load_b32 v86, v4
	ds_load_b64 v[75:76], v7
	s_wait_dscnt 0x4
	v_mul_f32_e32 v7, v18, v11
	s_wait_dscnt 0x3
	v_dual_mul_f32 v87, v21, v9 :: v_dual_mul_f32 v88, v19, v11
	v_mul_f32_e32 v9, v20, v9
	s_wait_dscnt 0x2
	v_mul_f32_e32 v89, v74, v25
	v_fma_f32 v90, v19, v10, -v7
	v_mul_f32_e32 v7, v73, v25
	v_dual_fmac_f32 v87, v20, v8 :: v_dual_fmac_f32 v88, v18, v10
	v_fma_f32 v91, v21, v8, -v9
	v_fmac_f32_e32 v89, v73, v24
	s_delay_alu instid0(VALU_DEP_4)
	v_fma_f32 v73, v74, v24, -v7
	ds_load_2addr_stride64_b64 v[7:10], v6 offset1:16
	v_add_nc_u32_e32 v20, 48, v82
	v_lshrrev_b32_e32 v11, 13, v78
	v_mul_lo_u32 v74, v1, v82
	v_mul_f32_e32 v24, v15, v16
	global_load_b64 v[18:19], v[31:32], off offset:384
	v_mul_lo_u32 v78, v1, v20
	v_lshrrev_b32_e32 v1, 13, v77
	v_and_b32_e32 v11, 0x7f8, v11
	v_mul_f32_e32 v77, v15, v17
	v_fma_f32 v17, v14, v17, -v24
	global_load_b64 v[30:31], v2, s[0:1] offset:4096
	v_and_b32_e32 v1, 0x7f8, v1
	global_load_b64 v[20:21], v11, s[0:1] offset:4096
	v_mul_f32_e32 v2, v34, v36
	v_fmac_f32_e32 v77, v14, v16
	v_mul_f32_e32 v32, v42, v44
	global_load_b64 v[24:25], v1, s[0:1] offset:4096
	v_and_b32_e32 v1, 0xff, v74
	s_wait_dscnt 0x1
	v_sub_f32_e32 v17, v76, v17
	s_wait_dscnt 0x0
	v_mul_f32_e32 v11, v13, v9
	v_dual_mul_f32 v92, v13, v10 :: v_dual_mul_f32 v13, v38, v40
	v_lshlrev_b32_e32 v1, 3, v1
	v_fma_f32 v97, v41, v43, -v32
	s_delay_alu instid0(VALU_DEP_4)
	v_fma_f32 v93, v12, v10, -v11
	v_lshrrev_b32_e32 v10, 13, v80
	v_fma_f32 v80, v33, v35, -v2
	v_and_b32_e32 v2, 0xff, v78
	v_fmac_f32_e32 v92, v12, v9
	v_lshrrev_b32_e32 v12, 5, v78
	v_fma_f32 v95, v37, v39, -v13
	v_lshrrev_b32_e32 v9, 5, v74
	v_lshlrev_b32_e32 v2, 3, v2
	v_lshrrev_b32_e32 v11, 13, v81
	v_and_b32_e32 v12, 0x7f8, v12
	s_clause 0x1
	global_load_b64 v[13:14], v2, s[0:1]
	global_load_b64 v[15:16], v12, s[0:1] offset:2048
	v_and_b32_e32 v9, 0x7f8, v9
	s_clause 0x1
	global_load_b64 v[32:33], v1, s[0:1]
	global_load_b64 v[34:35], v9, s[0:1] offset:2048
	v_lshrrev_b32_e32 v9, 13, v83
	v_mul_f32_e32 v81, v37, v40
	v_dual_mul_f32 v1, v46, v48 :: v_dual_and_b32 v2, 0x7f8, v10
	v_and_b32_e32 v10, 0x7f8, v11
	s_delay_alu instid0(VALU_DEP_4) | instskip(NEXT) | instid1(VALU_DEP_4)
	v_and_b32_e32 v9, 0x7f8, v9
	v_fmac_f32_e32 v81, v38, v39
	s_delay_alu instid0(VALU_DEP_4)
	v_fma_f32 v83, v45, v47, -v1
	global_load_b64 v[36:37], v2, s[0:1] offset:4096
	v_mul_f32_e32 v1, v50, v52
	s_clause 0x1
	global_load_b64 v[40:41], v9, s[0:1] offset:4096
	global_load_b64 v[38:39], v10, s[0:1] offset:4096
	v_mul_i32_i24_e32 v2, 3, v82
	v_lshrrev_b32_e32 v50, 13, v78
	v_fma_f32 v100, v49, v51, -v1
	s_delay_alu instid0(VALU_DEP_3) | instskip(NEXT) | instid1(VALU_DEP_1)
	v_lshlrev_b64_e32 v[1:2], 3, v[2:3]
	v_add_co_u32 v1, vcc_lo, s10, v1
	s_wait_alu 0xfffd
	s_delay_alu instid0(VALU_DEP_2)
	v_add_co_ci_u32_e32 v2, vcc_lo, s11, v2, vcc_lo
	v_cmp_lt_u32_e32 vcc_lo, 0x2ff, v0
	s_wait_loadcnt 0x13
	v_mul_f32_e32 v10, v54, v56
	v_mul_f32_e32 v56, v53, v56
	s_wait_loadcnt 0x11
	v_mul_f32_e32 v3, v58, v60
	s_delay_alu instid0(VALU_DEP_3) | instskip(NEXT) | instid1(VALU_DEP_3)
	v_fma_f32 v101, v53, v55, -v10
	v_fmac_f32_e32 v56, v54, v55
	s_delay_alu instid0(VALU_DEP_3)
	v_fma_f32 v55, v57, v59, -v3
	v_lshrrev_b32_e32 v3, 13, v26
	v_lshrrev_b32_e32 v26, 13, v79
	v_mul_f32_e32 v54, v57, v60
	s_clause 0x1
	global_load_b128 v[9:12], v[1:2], off offset:368
	global_load_b64 v[1:2], v[1:2], off offset:384
	v_and_b32_e32 v3, 0x7f8, v3
	v_and_b32_e32 v26, 0x7f8, v26
	v_fmac_f32_e32 v54, v58, v59
	s_wait_loadcnt 0x11
	v_mul_f32_e32 v44, v62, v64
	global_load_b64 v[42:43], v3, s[0:1] offset:4096
	v_mul_f32_e32 v57, v61, v64
	v_fma_f32 v58, v61, v63, -v44
	global_load_b64 v[44:45], v26, s[0:1] offset:4096
	v_lshrrev_b32_e32 v3, 13, v85
	v_lshrrev_b32_e32 v26, 13, v84
	v_fmac_f32_e32 v57, v62, v63
	s_wait_loadcnt 0x11
	v_mul_f32_e32 v59, v65, v68
	v_and_b32_e32 v3, 0x7f8, v3
	s_delay_alu instid0(VALU_DEP_2) | instskip(SKIP_4) | instid1(VALU_DEP_1)
	v_dual_fmac_f32 v59, v66, v67 :: v_dual_and_b32 v26, 0x7f8, v26
	s_clause 0x1
	global_load_b64 v[46:47], v3, s[0:1] offset:4096
	global_load_b64 v[48:49], v26, s[0:1] offset:4096
	v_dual_mul_f32 v3, v66, v68 :: v_dual_sub_f32 v66, v75, v77
	v_fma_f32 v60, v65, v67, -v3
	v_and_b32_e32 v3, 0x7f8, v50
	global_load_b64 v[50:51], v3, s[0:1] offset:4096
	v_lshrrev_b32_e32 v3, 13, v74
	s_wait_loadcnt 0x12
	v_mul_f32_e32 v61, v69, v72
	s_delay_alu instid0(VALU_DEP_2) | instskip(NEXT) | instid1(VALU_DEP_2)
	v_dual_mul_f32 v26, v70, v72 :: v_dual_and_b32 v3, 0x7f8, v3
	v_fmac_f32_e32 v61, v70, v71
	v_fma_f32 v70, v75, 2.0, -v66
	s_delay_alu instid0(VALU_DEP_3)
	v_fma_f32 v26, v69, v71, -v26
	s_wait_loadcnt 0xc
	v_mul_f32_e32 v62, v13, v16
	global_load_b64 v[52:53], v3, s[0:1] offset:4096
	v_mul_f32_e32 v3, v14, v16
	s_lshl_b64 s[0:1], s[6:7], 3
	v_fmac_f32_e32 v62, v14, v15
	s_wait_loadcnt 0xb
	v_mul_f32_e32 v63, v33, v35
	v_fma_f32 v64, v13, v15, -v3
	ds_load_2addr_stride64_b64 v[13:16], v6 offset0:36 offset1:40
	ds_load_b64 v[3:4], v4
	ds_load_b64 v[5:6], v5
	v_mul_f32_e32 v35, v32, v35
	v_fma_f32 v32, v32, v34, -v63
	s_add_nc_u64 s[0:1], s[8:9], s[0:1]
	s_delay_alu instid0(VALU_DEP_2)
	v_fmac_f32_e32 v35, v33, v34
	s_wait_loadcnt 0x8
	v_mul_f32_e32 v67, v54, v39
	s_wait_dscnt 0x2
	v_mul_f32_e32 v33, v16, v19
	v_mul_f32_e32 v19, v15, v19
	s_wait_dscnt 0x1
	v_sub_f32_e32 v3, v3, v88
	s_delay_alu instid0(VALU_DEP_3) | instskip(NEXT) | instid1(VALU_DEP_3)
	v_fmac_f32_e32 v33, v15, v18
	v_fma_f32 v15, v16, v18, -v19
	v_sub_f32_e32 v18, v87, v89
	v_dual_sub_f32 v19, v91, v73 :: v_dual_sub_f32 v34, v4, v90
	v_fma_f32 v65, v86, 2.0, -v3
	s_delay_alu instid0(VALU_DEP_4) | instskip(SKIP_1) | instid1(VALU_DEP_4)
	v_sub_f32_e32 v15, v93, v15
	v_sub_f32_e32 v33, v92, v33
	v_fma_f32 v63, v91, 2.0, -v19
	v_add_f32_e32 v19, v3, v19
	v_fma_f32 v4, v4, 2.0, -v34
	v_add_f32_e32 v74, v66, v15
	s_delay_alu instid0(VALU_DEP_3) | instskip(NEXT) | instid1(VALU_DEP_3)
	v_fma_f32 v73, v3, 2.0, -v19
	v_sub_f32_e32 v63, v4, v63
	v_fma_f32 v3, v92, 2.0, -v33
	s_wait_loadcnt 0x7
	v_mul_f32_e32 v16, v12, v22
	v_mul_f32_e32 v12, v12, v23
	s_delay_alu instid0(VALU_DEP_2) | instskip(NEXT) | instid1(VALU_DEP_2)
	v_fma_f32 v16, v11, v23, -v16
	v_fmac_f32_e32 v12, v11, v22
	s_wait_dscnt 0x0
	v_mul_f32_e32 v11, v10, v6
	s_wait_loadcnt 0x6
	v_mul_f32_e32 v22, v2, v14
	v_mul_f32_e32 v10, v10, v5
	;; [unrolled: 1-line block ×3, first 2 shown]
	v_dual_sub_f32 v16, v8, v16 :: v_dual_fmac_f32 v11, v9, v5
	s_delay_alu instid0(VALU_DEP_4) | instskip(NEXT) | instid1(VALU_DEP_4)
	v_fmac_f32_e32 v22, v1, v13
	v_fma_f32 v5, v9, v6, -v10
	v_mul_f32_e32 v9, v81, v31
	v_sub_f32_e32 v23, v34, v18
	v_fma_f32 v18, v87, 2.0, -v18
	v_dual_mul_f32 v10, v95, v31 :: v_dual_mul_f32 v13, v96, v21
	s_wait_loadcnt 0x5
	v_mul_f32_e32 v6, v80, v43
	v_fma_f32 v69, v30, v95, -v9
	v_sub_f32_e32 v18, v65, v18
	v_sub_f32_e32 v12, v7, v12
	v_fma_f32 v72, v20, v97, -v13
	s_wait_loadcnt 0x4
	v_mul_f32_e32 v31, v99, v45
	v_fma_f32 v13, v93, 2.0, -v15
	v_sub_f32_e32 v15, v11, v22
	v_fma_f32 v34, v34, 2.0, -v23
	s_wait_loadcnt 0x3
	v_mul_f32_e32 v9, v61, v47
	s_wait_loadcnt 0x1
	v_mul_f32_e32 v71, v62, v51
	v_mul_f32_e32 v51, v64, v51
	v_fma_f32 v1, v1, v14, -v2
	v_mul_f32_e32 v2, v94, v43
	v_mul_f32_e32 v14, v97, v21
	;; [unrolled: 1-line block ×3, first 2 shown]
	v_dual_mul_f32 v25, v83, v25 :: v_dual_fmac_f32 v6, v42, v94
	v_mul_f32_e32 v43, v100, v45
	v_mul_f32_e32 v45, v56, v37
	;; [unrolled: 1-line block ×3, first 2 shown]
	v_fma_f32 v68, v42, v80, -v2
	v_dual_mul_f32 v2, v55, v39 :: v_dual_mul_f32 v39, v57, v41
	v_mul_f32_e32 v41, v58, v41
	v_dual_mul_f32 v42, v59, v49 :: v_dual_fmac_f32 v25, v24, v98
	v_mul_f32_e32 v49, v60, v49
	v_fmac_f32_e32 v10, v30, v81
	v_dual_mul_f32 v30, v26, v47 :: v_dual_sub_f32 v1, v5, v1
	v_fma_f32 v47, v76, 2.0, -v17
	v_dual_sub_f32 v33, v17, v33 :: v_dual_fmac_f32 v2, v38, v54
	v_fmac_f32_e32 v14, v20, v96
	v_fma_f32 v20, v24, v83, -v21
	v_fma_f32 v21, v44, v100, -v31
	v_dual_fmac_f32 v43, v44, v99 :: v_dual_fmac_f32 v30, v46, v61
	v_fma_f32 v22, v36, v101, -v45
	v_fmac_f32_e32 v37, v36, v56
	v_fma_f32 v24, v38, v55, -v67
	v_fma_f32 v31, v40, v58, -v39
	v_dual_fmac_f32 v41, v40, v57 :: v_dual_mul_f32 v56, v19, v6
	v_fma_f32 v36, v48, v60, -v42
	v_fmac_f32_e32 v49, v48, v59
	v_fma_f32 v26, v46, v26, -v9
	v_fma_f32 v39, v4, 2.0, -v63
	v_fma_f32 v40, v65, 2.0, -v18
	v_sub_f32_e32 v44, v70, v3
	v_sub_f32_e32 v46, v16, v15
	v_dual_add_f32 v48, v12, v1 :: v_dual_mul_f32 v3, v63, v10
	v_fma_f32 v54, v8, 2.0, -v16
	v_fma_f32 v4, v5, 2.0, -v1
	;; [unrolled: 1-line block ×4, first 2 shown]
	v_mul_f32_e32 v1, v23, v6
	v_mul_f32_e32 v6, v18, v10
	;; [unrolled: 1-line block ×3, first 2 shown]
	v_dual_mul_f32 v5, v34, v14 :: v_dual_mul_f32 v58, v48, v49
	v_dual_mul_f32 v14, v74, v43 :: v_dual_mul_f32 v9, v39, v25
	v_fma_f32 v57, v70, 2.0, -v44
	v_mul_f32_e32 v15, v46, v49
	v_sub_f32_e32 v49, v54, v4
	v_sub_f32_e32 v59, v55, v8
	v_mul_f32_e32 v7, v33, v43
	v_mul_f32_e32 v43, v40, v25
	v_fma_f32 v17, v17, 2.0, -v33
	v_fmac_f32_e32 v1, v19, v68
	v_fma_f32 v4, v63, v69, -v6
	v_fmac_f32_e32 v3, v18, v69
	v_fma_f32 v6, v34, v72, -v10
	v_fma_f32 v10, v39, v20, -v43
	v_dual_fmac_f32 v9, v40, v20 :: v_dual_mul_f32 v18, v57, v41
	v_mul_f32_e32 v20, v59, v30
	v_dual_mul_f32 v19, v49, v30 :: v_dual_sub_f32 v42, v47, v13
	v_fma_f32 v45, v66, 2.0, -v74
	v_mul_f32_e32 v13, v17, v2
	s_delay_alu instid0(VALU_DEP_4)
	v_fma_f32 v20, v49, v26, -v20
	s_wait_loadcnt 0x0
	v_dual_fmac_f32 v19, v59, v26 :: v_dual_mul_f32 v26, v32, v53
	v_mul_f32_e32 v11, v42, v37
	v_fma_f32 v8, v33, v21, -v14
	v_fmac_f32_e32 v7, v74, v21
	s_wait_alu 0xfffd
	v_cndmask_b32_e64 v21, 0, 0xc0, vcc_lo
	v_fmac_f32_e32 v26, v52, v35
	v_fma_f32 v39, v54, 2.0, -v49
	v_mul_f32_e32 v25, v44, v37
	v_dual_mul_f32 v37, v45, v2 :: v_dual_mul_f32 v30, v35, v53
	v_fma_f32 v61, v12, 2.0, -v48
	v_fma_f32 v2, v23, v68, -v56
	v_fmac_f32_e32 v11, v44, v22
	s_delay_alu instid0(VALU_DEP_4)
	v_fma_f32 v14, v17, v24, -v37
	v_or_b32_e32 v37, v82, v21
	v_fmac_f32_e32 v13, v45, v24
	v_fma_f32 v40, v52, v32, -v30
	v_mul_f32_e32 v30, v39, v26
	v_fma_f32 v12, v42, v22, -v25
	v_mad_co_u64_u32 v[21:22], null, s4, v27, 0
	v_mad_co_u64_u32 v[23:24], null, s2, v37, 0
	v_fma_f32 v60, v16, 2.0, -v46
	v_fmac_f32_e32 v51, v50, v62
	v_fma_f32 v47, v47, 2.0, -v42
	v_add_nc_u32_e32 v42, 48, v37
	v_fma_f32 v16, v46, v36, -v58
	v_fmac_f32_e32 v15, v48, v36
	v_mul_f32_e32 v25, v60, v51
	v_mad_co_u64_u32 v[32:33], null, s5, v27, v[22:23]
	v_mul_f32_e32 v17, v47, v41
	v_fma_f32 v36, v55, 2.0, -v59
	s_delay_alu instid0(VALU_DEP_4)
	v_mad_co_u64_u32 v[33:34], null, s3, v37, v[24:25]
	v_mad_co_u64_u32 v[34:35], null, s2, v42, 0
	v_mov_b32_e32 v22, v32
	v_fma_f32 v38, v50, v64, -v71
	v_fma_f32 v18, v47, v31, -v18
	v_fmac_f32_e32 v17, v57, v31
	v_mov_b32_e32 v24, v33
	v_lshlrev_b64_e32 v[21:22], 3, v[21:22]
	v_mul_f32_e32 v31, v61, v51
	v_mul_f32_e32 v41, v36, v26
	v_mov_b32_e32 v27, v35
	v_lshlrev_b64_e32 v[23:24], 3, v[23:24]
	v_fmac_f32_e32 v30, v36, v40
	v_fma_f32 v26, v60, v38, -v31
	v_fma_f32 v31, v39, v40, -v41
	v_add_co_u32 v39, vcc_lo, s0, v21
	v_mad_co_u64_u32 v[32:33], null, s3, v42, v[27:28]
	s_wait_alu 0xfffd
	v_add_co_ci_u32_e32 v40, vcc_lo, s1, v22, vcc_lo
	s_delay_alu instid0(VALU_DEP_3) | instskip(SKIP_2) | instid1(VALU_DEP_3)
	v_add_co_u32 v23, vcc_lo, v39, v23
	v_add_nc_u32_e32 v27, 0x60, v37
	s_wait_alu 0xfffd
	v_add_co_ci_u32_e32 v24, vcc_lo, v40, v24, vcc_lo
	v_cmp_lt_u32_e32 vcc_lo, 0x1ff, v0
	v_mov_b32_e32 v35, v32
	v_fmac_f32_e32 v25, v61, v38
	v_mad_co_u64_u32 v[21:22], null, s2, v27, 0
	s_wait_alu 0xfffd
	v_cndmask_b32_e64 v38, 0, 0x90, vcc_lo
	v_add_nc_u32_e32 v41, 0x90, v37
	v_lshlrev_b64_e32 v[32:33], 3, v[34:35]
	global_store_b64 v[23:24], v[30:31], off
	v_add_nc_u32_e32 v42, v38, v28
	v_mad_co_u64_u32 v[34:35], null, s2, v41, 0
	v_mad_co_u64_u32 v[36:37], null, s3, v27, v[22:23]
	v_add_co_u32 v27, vcc_lo, v39, v32
	s_wait_alu 0xfffd
	v_add_co_ci_u32_e32 v28, vcc_lo, v40, v33, vcc_lo
	v_mad_co_u64_u32 v[37:38], null, s2, v42, 0
	v_dual_fmac_f32 v5, v73, v72 :: v_dual_add_nc_u32 v30, 48, v42
	v_mov_b32_e32 v32, v35
	global_store_b64 v[27:28], v[25:26], off
	v_mov_b32_e32 v22, v36
	v_mad_co_u64_u32 v[24:25], null, s2, v30, 0
	v_mov_b32_e32 v23, v38
	v_mad_co_u64_u32 v[32:33], null, s3, v41, v[32:33]
	s_delay_alu instid0(VALU_DEP_4) | instskip(NEXT) | instid1(VALU_DEP_3)
	v_lshlrev_b64_e32 v[21:22], 3, v[21:22]
	v_mad_co_u64_u32 v[26:27], null, s3, v42, v[23:24]
	v_mov_b32_e32 v23, v25
	s_delay_alu instid0(VALU_DEP_4) | instskip(NEXT) | instid1(VALU_DEP_4)
	v_dual_mov_b32 v35, v32 :: v_dual_add_nc_u32 v32, 0x60, v42
	v_add_co_u32 v21, vcc_lo, v39, v21
	s_wait_alu 0xfffd
	v_add_co_ci_u32_e32 v22, vcc_lo, v40, v22, vcc_lo
	v_mov_b32_e32 v38, v26
	v_mad_co_u64_u32 v[25:26], null, s3, v30, v[23:24]
	v_mad_co_u64_u32 v[30:31], null, s2, v32, 0
	v_lshlrev_b64_e32 v[27:28], 3, v[34:35]
	global_store_b64 v[21:22], v[19:20], off
	v_lshlrev_b64_e32 v[19:20], 3, v[37:38]
	v_lshlrev_b64_e32 v[24:25], 3, v[24:25]
	v_add_co_u32 v21, vcc_lo, v39, v27
	v_mov_b32_e32 v23, v31
	s_wait_alu 0xfffd
	v_add_co_ci_u32_e32 v22, vcc_lo, v40, v28, vcc_lo
	v_add_co_u32 v19, vcc_lo, v39, v19
	s_wait_alu 0xfffd
	v_add_co_ci_u32_e32 v20, vcc_lo, v40, v20, vcc_lo
	v_mad_co_u64_u32 v[26:27], null, s3, v32, v[23:24]
	v_cmp_lt_u32_e32 vcc_lo, 0xff, v0
	v_add_nc_u32_e32 v27, 0x90, v42
	s_wait_alu 0xfffd
	v_cndmask_b32_e64 v0, 0, 0x90, vcc_lo
	v_add_co_u32 v23, vcc_lo, v39, v24
	s_wait_alu 0xfffd
	v_add_co_ci_u32_e32 v24, vcc_lo, v40, v25, vcc_lo
	v_mov_b32_e32 v31, v26
	v_mad_co_u64_u32 v[25:26], null, s2, v27, 0
	v_add_nc_u32_e32 v28, v0, v29
	s_delay_alu instid0(VALU_DEP_1)
	v_dual_mov_b32 v0, v26 :: v_dual_add_nc_u32 v29, 0x60, v28
	s_clause 0x2
	global_store_b64 v[21:22], v[15:16], off
	global_store_b64 v[19:20], v[17:18], off
	;; [unrolled: 1-line block ×3, first 2 shown]
	v_add_nc_u32_e32 v23, 48, v28
	v_mad_co_u64_u32 v[15:16], null, s2, v28, 0
	v_mad_co_u64_u32 v[19:20], null, s3, v27, v[0:1]
	s_delay_alu instid0(VALU_DEP_3) | instskip(SKIP_2) | instid1(VALU_DEP_4)
	v_mad_co_u64_u32 v[17:18], null, s2, v23, 0
	v_lshlrev_b64_e32 v[13:14], 3, v[30:31]
	v_add_nc_u32_e32 v30, 0x90, v28
	v_mov_b32_e32 v26, v19
	s_delay_alu instid0(VALU_DEP_4)
	v_mad_co_u64_u32 v[20:21], null, s3, v28, v[16:17]
	v_mad_co_u64_u32 v[21:22], null, s2, v29, 0
	v_mov_b32_e32 v0, v18
	v_mad_co_u64_u32 v[27:28], null, s2, v30, 0
	v_add_co_u32 v13, vcc_lo, v39, v13
	s_wait_alu 0xfffd
	v_add_co_ci_u32_e32 v14, vcc_lo, v40, v14, vcc_lo
	v_mad_co_u64_u32 v[23:24], null, s3, v23, v[0:1]
	v_mov_b32_e32 v0, v22
	global_store_b64 v[13:14], v[11:12], off
	v_mov_b32_e32 v16, v20
	v_lshlrev_b64_e32 v[11:12], 3, v[25:26]
	v_mad_co_u64_u32 v[13:14], null, s3, v29, v[0:1]
	v_mov_b32_e32 v0, v28
	v_mov_b32_e32 v18, v23
	v_lshlrev_b64_e32 v[14:15], 3, v[15:16]
	v_add_co_u32 v11, vcc_lo, v39, v11
	s_delay_alu instid0(VALU_DEP_4) | instskip(NEXT) | instid1(VALU_DEP_4)
	v_mad_co_u64_u32 v[19:20], null, s3, v30, v[0:1]
	v_lshlrev_b64_e32 v[16:17], 3, v[17:18]
	v_mov_b32_e32 v22, v13
	s_wait_alu 0xfffd
	v_add_co_ci_u32_e32 v12, vcc_lo, v40, v12, vcc_lo
	v_add_co_u32 v13, vcc_lo, v39, v14
	v_mov_b32_e32 v28, v19
	s_wait_alu 0xfffd
	v_add_co_ci_u32_e32 v14, vcc_lo, v40, v15, vcc_lo
	v_lshlrev_b64_e32 v[20:21], 3, v[21:22]
	v_add_co_u32 v15, vcc_lo, v39, v16
	s_wait_alu 0xfffd
	v_add_co_ci_u32_e32 v16, vcc_lo, v40, v17, vcc_lo
	v_lshlrev_b64_e32 v[17:18], 3, v[27:28]
	s_delay_alu instid0(VALU_DEP_4) | instskip(SKIP_2) | instid1(VALU_DEP_3)
	v_add_co_u32 v19, vcc_lo, v39, v20
	s_wait_alu 0xfffd
	v_add_co_ci_u32_e32 v20, vcc_lo, v40, v21, vcc_lo
	v_add_co_u32 v17, vcc_lo, v39, v17
	s_wait_alu 0xfffd
	v_add_co_ci_u32_e32 v18, vcc_lo, v40, v18, vcc_lo
	s_clause 0x4
	global_store_b64 v[11:12], v[7:8], off
	global_store_b64 v[13:14], v[9:10], off
	global_store_b64 v[15:16], v[5:6], off
	global_store_b64 v[19:20], v[3:4], off
	global_store_b64 v[17:18], v[1:2], off
.LBB0_12:
	s_nop 0
	s_sendmsg sendmsg(MSG_DEALLOC_VGPRS)
	s_endpgm
	.section	.rodata,"a",@progbits
	.p2align	6, 0x0
	.amdhsa_kernel fft_rtc_back_len192_factors_2_2_3_4_4_wgs_256_tpt_16_dim2_sp_ip_CI_sbcc_twdbase8_3step_dirReg
		.amdhsa_group_segment_fixed_size 0
		.amdhsa_private_segment_fixed_size 0
		.amdhsa_kernarg_size 88
		.amdhsa_user_sgpr_count 2
		.amdhsa_user_sgpr_dispatch_ptr 0
		.amdhsa_user_sgpr_queue_ptr 0
		.amdhsa_user_sgpr_kernarg_segment_ptr 1
		.amdhsa_user_sgpr_dispatch_id 0
		.amdhsa_user_sgpr_private_segment_size 0
		.amdhsa_wavefront_size32 1
		.amdhsa_uses_dynamic_stack 0
		.amdhsa_enable_private_segment 0
		.amdhsa_system_sgpr_workgroup_id_x 1
		.amdhsa_system_sgpr_workgroup_id_y 0
		.amdhsa_system_sgpr_workgroup_id_z 0
		.amdhsa_system_sgpr_workgroup_info 0
		.amdhsa_system_vgpr_workitem_id 0
		.amdhsa_next_free_vgpr 102
		.amdhsa_next_free_sgpr 21
		.amdhsa_reserve_vcc 1
		.amdhsa_float_round_mode_32 0
		.amdhsa_float_round_mode_16_64 0
		.amdhsa_float_denorm_mode_32 3
		.amdhsa_float_denorm_mode_16_64 3
		.amdhsa_fp16_overflow 0
		.amdhsa_workgroup_processor_mode 1
		.amdhsa_memory_ordered 1
		.amdhsa_forward_progress 0
		.amdhsa_round_robin_scheduling 0
		.amdhsa_exception_fp_ieee_invalid_op 0
		.amdhsa_exception_fp_denorm_src 0
		.amdhsa_exception_fp_ieee_div_zero 0
		.amdhsa_exception_fp_ieee_overflow 0
		.amdhsa_exception_fp_ieee_underflow 0
		.amdhsa_exception_fp_ieee_inexact 0
		.amdhsa_exception_int_div_zero 0
	.end_amdhsa_kernel
	.text
.Lfunc_end0:
	.size	fft_rtc_back_len192_factors_2_2_3_4_4_wgs_256_tpt_16_dim2_sp_ip_CI_sbcc_twdbase8_3step_dirReg, .Lfunc_end0-fft_rtc_back_len192_factors_2_2_3_4_4_wgs_256_tpt_16_dim2_sp_ip_CI_sbcc_twdbase8_3step_dirReg
                                        ; -- End function
	.section	.AMDGPU.csdata,"",@progbits
; Kernel info:
; codeLenInByte = 8748
; NumSgprs: 23
; NumVgprs: 102
; ScratchSize: 0
; MemoryBound: 0
; FloatMode: 240
; IeeeMode: 1
; LDSByteSize: 0 bytes/workgroup (compile time only)
; SGPRBlocks: 2
; VGPRBlocks: 12
; NumSGPRsForWavesPerEU: 23
; NumVGPRsForWavesPerEU: 102
; Occupancy: 12
; WaveLimiterHint : 1
; COMPUTE_PGM_RSRC2:SCRATCH_EN: 0
; COMPUTE_PGM_RSRC2:USER_SGPR: 2
; COMPUTE_PGM_RSRC2:TRAP_HANDLER: 0
; COMPUTE_PGM_RSRC2:TGID_X_EN: 1
; COMPUTE_PGM_RSRC2:TGID_Y_EN: 0
; COMPUTE_PGM_RSRC2:TGID_Z_EN: 0
; COMPUTE_PGM_RSRC2:TIDIG_COMP_CNT: 0
	.text
	.p2alignl 7, 3214868480
	.fill 96, 4, 3214868480
	.type	__hip_cuid_23dea3bc0402a634,@object ; @__hip_cuid_23dea3bc0402a634
	.section	.bss,"aw",@nobits
	.globl	__hip_cuid_23dea3bc0402a634
__hip_cuid_23dea3bc0402a634:
	.byte	0                               ; 0x0
	.size	__hip_cuid_23dea3bc0402a634, 1

	.ident	"AMD clang version 19.0.0git (https://github.com/RadeonOpenCompute/llvm-project roc-6.4.0 25133 c7fe45cf4b819c5991fe208aaa96edf142730f1d)"
	.section	".note.GNU-stack","",@progbits
	.addrsig
	.addrsig_sym __hip_cuid_23dea3bc0402a634
	.amdgpu_metadata
---
amdhsa.kernels:
  - .args:
      - .actual_access:  read_only
        .address_space:  global
        .offset:         0
        .size:           8
        .value_kind:     global_buffer
      - .address_space:  global
        .offset:         8
        .size:           8
        .value_kind:     global_buffer
      - .actual_access:  read_only
        .address_space:  global
        .offset:         16
        .size:           8
        .value_kind:     global_buffer
      - .actual_access:  read_only
        .address_space:  global
        .offset:         24
        .size:           8
        .value_kind:     global_buffer
      - .offset:         32
        .size:           8
        .value_kind:     by_value
      - .actual_access:  read_only
        .address_space:  global
        .offset:         40
        .size:           8
        .value_kind:     global_buffer
      - .actual_access:  read_only
        .address_space:  global
        .offset:         48
        .size:           8
        .value_kind:     global_buffer
      - .offset:         56
        .size:           4
        .value_kind:     by_value
      - .actual_access:  read_only
        .address_space:  global
        .offset:         64
        .size:           8
        .value_kind:     global_buffer
      - .actual_access:  read_only
        .address_space:  global
        .offset:         72
        .size:           8
        .value_kind:     global_buffer
      - .address_space:  global
        .offset:         80
        .size:           8
        .value_kind:     global_buffer
    .group_segment_fixed_size: 0
    .kernarg_segment_align: 8
    .kernarg_segment_size: 88
    .language:       OpenCL C
    .language_version:
      - 2
      - 0
    .max_flat_workgroup_size: 256
    .name:           fft_rtc_back_len192_factors_2_2_3_4_4_wgs_256_tpt_16_dim2_sp_ip_CI_sbcc_twdbase8_3step_dirReg
    .private_segment_fixed_size: 0
    .sgpr_count:     23
    .sgpr_spill_count: 0
    .symbol:         fft_rtc_back_len192_factors_2_2_3_4_4_wgs_256_tpt_16_dim2_sp_ip_CI_sbcc_twdbase8_3step_dirReg.kd
    .uniform_work_group_size: 1
    .uses_dynamic_stack: false
    .vgpr_count:     102
    .vgpr_spill_count: 0
    .wavefront_size: 32
    .workgroup_processor_mode: 1
amdhsa.target:   amdgcn-amd-amdhsa--gfx1201
amdhsa.version:
  - 1
  - 2
...

	.end_amdgpu_metadata
